;; amdgpu-corpus repo=ROCm/rocFFT kind=compiled arch=gfx906 opt=O3
	.text
	.amdgcn_target "amdgcn-amd-amdhsa--gfx906"
	.amdhsa_code_object_version 6
	.protected	fft_rtc_fwd_len243_factors_3_3_3_3_3_wgs_162_tpt_81_dim1_dp_ip_CI_unitstride_sbrr_dirReg ; -- Begin function fft_rtc_fwd_len243_factors_3_3_3_3_3_wgs_162_tpt_81_dim1_dp_ip_CI_unitstride_sbrr_dirReg
	.globl	fft_rtc_fwd_len243_factors_3_3_3_3_3_wgs_162_tpt_81_dim1_dp_ip_CI_unitstride_sbrr_dirReg
	.p2align	8
	.type	fft_rtc_fwd_len243_factors_3_3_3_3_3_wgs_162_tpt_81_dim1_dp_ip_CI_unitstride_sbrr_dirReg,@function
fft_rtc_fwd_len243_factors_3_3_3_3_3_wgs_162_tpt_81_dim1_dp_ip_CI_unitstride_sbrr_dirReg: ; @fft_rtc_fwd_len243_factors_3_3_3_3_3_wgs_162_tpt_81_dim1_dp_ip_CI_unitstride_sbrr_dirReg
; %bb.0:
	s_load_dwordx4 s[12:15], s[4:5], 0x10
	s_load_dwordx2 s[8:9], s[4:5], 0x0
	v_mul_u32_u24_e32 v1, 0x32a, v0
	v_lshrrev_b32_e32 v17, 16, v1
	v_lshl_add_u32 v1, s6, 1, v17
	s_waitcnt lgkmcnt(0)
	s_load_dwordx2 s[0:1], s[12:13], 0x8
                                        ; kill: def $vgpr5 killed $sgpr0 killed $exec
	v_mov_b32_e32 v2, 0
	v_cmp_gt_u64_e32 vcc, s[14:15], v[1:2]
	v_mov_b32_e32 v14, 0
	v_mov_b32_e32 v15, 0
	s_waitcnt lgkmcnt(0)
	v_mad_u64_u32 v[3:4], s[2:3], s0, v1, 0
	s_load_dwordx2 s[2:3], s[4:5], 0x48
                                        ; implicit-def: $vgpr6_vgpr7
                                        ; implicit-def: $vgpr10_vgpr11
	v_mad_u64_u32 v[4:5], s[0:1], s1, v1, v[4:5]
	v_mul_lo_u16_e32 v5, 0x51, v17
	v_sub_u16_e32 v16, v0, v5
	v_lshlrev_b64 v[12:13], 4, v[3:4]
                                        ; kill: def $vgpr0_vgpr1 killed $sgpr0_sgpr1 killed $exec
                                        ; implicit-def: $vgpr2_vgpr3
	s_and_saveexec_b64 s[4:5], vcc
	s_cbranch_execz .LBB0_2
; %bb.1:
	s_waitcnt lgkmcnt(0)
	v_mov_b32_e32 v0, s3
	v_add_co_u32_e64 v1, s[0:1], s2, v12
	v_addc_co_u32_e64 v0, s[0:1], v0, v13, s[0:1]
	v_lshlrev_b32_e32 v2, 4, v16
	v_add_co_u32_e64 v14, s[0:1], v1, v2
	v_addc_co_u32_e64 v15, s[0:1], 0, v0, s[0:1]
	global_load_dwordx4 v[0:3], v[14:15], off
	global_load_dwordx4 v[8:11], v[14:15], off offset:1296
	global_load_dwordx4 v[4:7], v[14:15], off offset:2592
	v_mov_b32_e32 v14, v16
	v_mov_b32_e32 v15, v17
.LBB0_2:
	s_or_b64 exec, exec, s[4:5]
	s_waitcnt vmcnt(0)
	v_add_f64 v[18:19], v[4:5], v[8:9]
	v_add_f64 v[20:21], v[6:7], v[10:11]
	;; [unrolled: 1-line block ×4, first 2 shown]
	v_add_f64 v[10:11], v[10:11], -v[6:7]
	v_add_f64 v[26:27], v[8:9], -v[4:5]
	s_mov_b32 s4, 0xe8584caa
	s_mov_b32 s5, 0x3febb67a
	v_fma_f64 v[8:9], v[18:19], -0.5, v[0:1]
	v_fma_f64 v[18:19], v[20:21], -0.5, v[2:3]
	s_mov_b32 s7, 0xbfebb67a
	s_mov_b32 s6, s4
	v_add_f64 v[0:1], v[4:5], v[22:23]
	v_add_f64 v[2:3], v[6:7], v[24:25]
	v_and_b32_e32 v15, 1, v17
	v_mov_b32_e32 v17, 0xf30
	v_fma_f64 v[4:5], v[10:11], s[4:5], v[8:9]
	v_fma_f64 v[6:7], v[26:27], s[6:7], v[18:19]
	;; [unrolled: 1-line block ×4, first 2 shown]
	v_cmp_eq_u32_e64 s[0:1], 1, v15
	v_cndmask_b32_e64 v29, 0, v17, s[0:1]
	v_add_u32_e32 v15, 0, v29
	v_mad_u32_u24 v17, v16, 48, v15
	s_movk_i32 s0, 0xab
	ds_write_b128 v17, v[0:3]
	ds_write_b128 v17, v[4:7] offset:16
	ds_write_b128 v17, v[8:11] offset:32
	v_mul_lo_u16_sdwa v0, v16, s0 dst_sel:DWORD dst_unused:UNUSED_PAD src0_sel:BYTE_0 src1_sel:DWORD
	v_lshrrev_b16_e32 v11, 9, v0
	v_mul_lo_u16_e32 v0, 3, v11
	v_sub_u16_e32 v30, v16, v0
	v_mov_b32_e32 v31, 5
	v_lshlrev_b32_sdwa v0, v31, v30 dst_sel:DWORD dst_unused:UNUSED_PAD src0_sel:DWORD src1_sel:BYTE_0
	s_waitcnt lgkmcnt(0)
	s_barrier
	global_load_dwordx4 v[3:6], v0, s[8:9]
	global_load_dwordx4 v[7:10], v0, s[8:9] offset:16
	v_lshlrev_b32_e32 v2, 5, v16
	v_sub_u32_e32 v0, v17, v2
	ds_read_b128 v[17:20], v0 offset:1296
	v_lshl_add_u32 v1, v16, 4, v15
	ds_read_b128 v[21:24], v1
	s_movk_i32 s0, 0x90
	v_mov_b32_e32 v32, 4
	v_mad_u32_u24 v11, v11, s0, 0
	s_movk_i32 s0, 0x1b0
	s_waitcnt vmcnt(1) lgkmcnt(1)
	v_mul_f64 v[25:26], v[19:20], v[5:6]
	v_mul_f64 v[5:6], v[17:18], v[5:6]
	v_fma_f64 v[25:26], v[17:18], v[3:4], -v[25:26]
	v_fma_f64 v[17:18], v[19:20], v[3:4], v[5:6]
	ds_read_b128 v[3:6], v0 offset:2592
	s_waitcnt vmcnt(0) lgkmcnt(0)
	s_barrier
	v_mul_f64 v[19:20], v[5:6], v[9:10]
	v_fma_f64 v[19:20], v[3:4], v[7:8], -v[19:20]
	v_mul_f64 v[3:4], v[3:4], v[9:10]
	v_add_f64 v[9:10], v[23:24], v[17:18]
	v_fma_f64 v[3:4], v[5:6], v[7:8], v[3:4]
	v_add_f64 v[5:6], v[25:26], v[19:20]
	v_add_f64 v[7:8], v[17:18], v[3:4]
	v_fma_f64 v[27:28], v[5:6], -0.5, v[21:22]
	v_add_f64 v[17:18], v[17:18], -v[3:4]
	v_mov_b32_e32 v5, 57
	v_mul_lo_u16_sdwa v5, v16, v5 dst_sel:DWORD dst_unused:UNUSED_PAD src0_sel:BYTE_0 src1_sel:DWORD
	v_lshrrev_b16_e32 v15, 9, v5
	v_mul_lo_u16_e32 v5, 9, v15
	v_sub_u16_e32 v33, v16, v5
	v_fma_f64 v[23:24], v[7:8], -0.5, v[23:24]
	v_add_f64 v[7:8], v[21:22], v[25:26]
	v_add_f64 v[21:22], v[25:26], -v[19:20]
	v_add_f64 v[5:6], v[9:10], v[3:4]
	v_lshlrev_b32_sdwa v25, v32, v30 dst_sel:DWORD dst_unused:UNUSED_PAD src0_sel:DWORD src1_sel:BYTE_0
	v_add3_u32 v11, v11, v25, v29
	v_mad_u32_u24 v30, v15, s0, 0
	s_movk_i32 s0, 0x510
	v_add_f64 v[3:4], v[7:8], v[19:20]
	v_fma_f64 v[7:8], v[17:18], s[4:5], v[27:28]
	v_fma_f64 v[9:10], v[21:22], s[6:7], v[23:24]
	;; [unrolled: 1-line block ×4, first 2 shown]
	v_lshlrev_b32_sdwa v21, v31, v33 dst_sel:DWORD dst_unused:UNUSED_PAD src0_sel:DWORD src1_sel:BYTE_0
	ds_write_b128 v11, v[3:6]
	ds_write_b128 v11, v[7:10] offset:48
	ds_write_b128 v11, v[17:20] offset:96
	s_waitcnt lgkmcnt(0)
	s_barrier
	global_load_dwordx4 v[3:6], v21, s[8:9] offset:96
	global_load_dwordx4 v[7:10], v21, s[8:9] offset:112
	ds_read_b128 v[17:20], v0 offset:1296
	ds_read_b128 v[21:24], v1
	s_waitcnt vmcnt(1) lgkmcnt(1)
	v_mul_f64 v[25:26], v[19:20], v[5:6]
	v_mul_f64 v[5:6], v[17:18], v[5:6]
	v_fma_f64 v[25:26], v[17:18], v[3:4], -v[25:26]
	v_fma_f64 v[17:18], v[19:20], v[3:4], v[5:6]
	ds_read_b128 v[3:6], v0 offset:2592
	s_waitcnt vmcnt(0) lgkmcnt(0)
	s_barrier
	v_mul_f64 v[19:20], v[5:6], v[9:10]
	v_fma_f64 v[19:20], v[3:4], v[7:8], -v[19:20]
	v_mul_f64 v[3:4], v[3:4], v[9:10]
	v_add_f64 v[9:10], v[23:24], v[17:18]
	v_fma_f64 v[3:4], v[5:6], v[7:8], v[3:4]
	v_add_f64 v[5:6], v[25:26], v[19:20]
	v_add_f64 v[7:8], v[17:18], v[3:4]
	v_fma_f64 v[27:28], v[5:6], -0.5, v[21:22]
	v_add_f64 v[17:18], v[17:18], -v[3:4]
	v_mov_b32_e32 v5, 19
	v_mul_lo_u16_sdwa v5, v16, v5 dst_sel:DWORD dst_unused:UNUSED_PAD src0_sel:BYTE_0 src1_sel:DWORD
	v_lshrrev_b16_e32 v11, 9, v5
	v_mul_lo_u16_e32 v5, 27, v11
	v_sub_u16_e32 v34, v16, v5
	v_fma_f64 v[23:24], v[7:8], -0.5, v[23:24]
	v_add_f64 v[7:8], v[21:22], v[25:26]
	v_add_f64 v[21:22], v[25:26], -v[19:20]
	v_add_f64 v[5:6], v[9:10], v[3:4]
	v_fma_f64 v[15:16], v[17:18], s[6:7], v[27:28]
	v_lshlrev_b32_sdwa v25, v32, v33 dst_sel:DWORD dst_unused:UNUSED_PAD src0_sel:DWORD src1_sel:BYTE_0
	v_mad_u32_u24 v11, v11, s0, 0
	v_add_f64 v[3:4], v[7:8], v[19:20]
	v_fma_f64 v[7:8], v[17:18], s[4:5], v[27:28]
	v_fma_f64 v[9:10], v[21:22], s[6:7], v[23:24]
	;; [unrolled: 1-line block ×3, first 2 shown]
	v_lshlrev_b32_sdwa v19, v31, v34 dst_sel:DWORD dst_unused:UNUSED_PAD src0_sel:DWORD src1_sel:BYTE_0
	v_add3_u32 v20, v30, v25, v29
	ds_write_b128 v20, v[3:6]
	ds_write_b128 v20, v[7:10] offset:144
	ds_write_b128 v20, v[15:18] offset:288
	s_waitcnt lgkmcnt(0)
	s_barrier
	global_load_dwordx4 v[3:6], v19, s[8:9] offset:384
	global_load_dwordx4 v[7:10], v19, s[8:9] offset:400
	ds_read_b128 v[15:18], v0 offset:1296
	ds_read_b128 v[19:22], v1
	s_waitcnt vmcnt(1) lgkmcnt(1)
	v_mul_f64 v[23:24], v[17:18], v[5:6]
	v_mul_f64 v[5:6], v[15:16], v[5:6]
	v_fma_f64 v[15:16], v[15:16], v[3:4], -v[23:24]
	v_fma_f64 v[17:18], v[17:18], v[3:4], v[5:6]
	ds_read_b128 v[3:6], v0 offset:2592
	s_waitcnt vmcnt(0) lgkmcnt(0)
	s_barrier
	v_mul_f64 v[23:24], v[5:6], v[9:10]
	v_mul_f64 v[9:10], v[3:4], v[9:10]
	v_add_f64 v[25:26], v[19:20], v[15:16]
	v_fma_f64 v[3:4], v[3:4], v[7:8], -v[23:24]
	v_fma_f64 v[5:6], v[5:6], v[7:8], v[9:10]
	v_add_f64 v[23:24], v[21:22], v[17:18]
	v_add_f64 v[7:8], v[15:16], v[3:4]
	;; [unrolled: 1-line block ×3, first 2 shown]
	v_add_f64 v[17:18], v[17:18], -v[5:6]
	v_add_f64 v[27:28], v[15:16], -v[3:4]
	v_add_f64 v[5:6], v[23:24], v[5:6]
	v_add_f64 v[3:4], v[25:26], v[3:4]
	v_fma_f64 v[19:20], v[7:8], -0.5, v[19:20]
	v_fma_f64 v[21:22], v[9:10], -0.5, v[21:22]
	v_fma_f64 v[7:8], v[17:18], s[4:5], v[19:20]
	v_fma_f64 v[9:10], v[27:28], s[6:7], v[21:22]
	;; [unrolled: 1-line block ×4, first 2 shown]
	v_lshlrev_b32_sdwa v19, v32, v34 dst_sel:DWORD dst_unused:UNUSED_PAD src0_sel:DWORD src1_sel:BYTE_0
	v_add3_u32 v11, v11, v19, v29
	ds_write_b128 v11, v[3:6]
	ds_write_b128 v11, v[7:10] offset:432
	ds_write_b128 v11, v[15:18] offset:864
	s_waitcnt lgkmcnt(0)
	s_barrier
	s_and_saveexec_b64 s[0:1], vcc
	s_cbranch_execz .LBB0_4
; %bb.3:
	global_load_dwordx4 v[3:6], v2, s[8:9] offset:1248
	global_load_dwordx4 v[7:10], v2, s[8:9] offset:1264
	ds_read_b128 v[15:18], v0 offset:1296
	ds_read_b128 v[19:22], v1
	ds_read_b128 v[23:26], v0 offset:2592
	v_add_co_u32_e32 v12, vcc, s2, v12
	v_lshlrev_b32_e32 v14, 4, v14
	s_waitcnt vmcnt(1) lgkmcnt(2)
	v_mul_f64 v[1:2], v[5:6], v[17:18]
	v_mul_f64 v[17:18], v[3:4], v[17:18]
	v_fma_f64 v[0:1], v[3:4], v[15:16], -v[1:2]
	v_fma_f64 v[2:3], v[15:16], v[5:6], v[17:18]
	s_waitcnt vmcnt(0) lgkmcnt(0)
	v_mul_f64 v[4:5], v[7:8], v[25:26]
	v_mul_f64 v[15:16], v[9:10], v[25:26]
	v_add_f64 v[17:18], v[2:3], v[21:22]
	v_fma_f64 v[4:5], v[23:24], v[9:10], v[4:5]
	v_fma_f64 v[6:7], v[7:8], v[23:24], -v[15:16]
	v_mov_b32_e32 v23, s3
	v_addc_co_u32_e32 v13, vcc, v23, v13, vcc
	v_add_co_u32_e32 v12, vcc, v12, v14
	v_addc_co_u32_e32 v13, vcc, 0, v13, vcc
	v_add_f64 v[8:9], v[2:3], v[4:5]
	v_add_f64 v[10:11], v[0:1], v[6:7]
	v_add_f64 v[15:16], v[0:1], -v[6:7]
	v_add_f64 v[0:1], v[0:1], v[19:20]
	v_fma_f64 v[8:9], v[8:9], -0.5, v[21:22]
	v_add_f64 v[21:22], v[2:3], -v[4:5]
	v_fma_f64 v[19:20], v[10:11], -0.5, v[19:20]
	v_add_f64 v[2:3], v[4:5], v[17:18]
	v_add_f64 v[0:1], v[6:7], v[0:1]
	v_fma_f64 v[6:7], v[15:16], s[4:5], v[8:9]
	v_fma_f64 v[10:11], v[15:16], s[6:7], v[8:9]
	;; [unrolled: 1-line block ×4, first 2 shown]
	global_store_dwordx4 v[12:13], v[0:3], off
	global_store_dwordx4 v[12:13], v[8:11], off offset:1296
	global_store_dwordx4 v[12:13], v[4:7], off offset:2592
.LBB0_4:
	s_endpgm
	.section	.rodata,"a",@progbits
	.p2align	6, 0x0
	.amdhsa_kernel fft_rtc_fwd_len243_factors_3_3_3_3_3_wgs_162_tpt_81_dim1_dp_ip_CI_unitstride_sbrr_dirReg
		.amdhsa_group_segment_fixed_size 0
		.amdhsa_private_segment_fixed_size 0
		.amdhsa_kernarg_size 80
		.amdhsa_user_sgpr_count 6
		.amdhsa_user_sgpr_private_segment_buffer 1
		.amdhsa_user_sgpr_dispatch_ptr 0
		.amdhsa_user_sgpr_queue_ptr 0
		.amdhsa_user_sgpr_kernarg_segment_ptr 1
		.amdhsa_user_sgpr_dispatch_id 0
		.amdhsa_user_sgpr_flat_scratch_init 0
		.amdhsa_user_sgpr_private_segment_size 0
		.amdhsa_uses_dynamic_stack 0
		.amdhsa_system_sgpr_private_segment_wavefront_offset 0
		.amdhsa_system_sgpr_workgroup_id_x 1
		.amdhsa_system_sgpr_workgroup_id_y 0
		.amdhsa_system_sgpr_workgroup_id_z 0
		.amdhsa_system_sgpr_workgroup_info 0
		.amdhsa_system_vgpr_workitem_id 0
		.amdhsa_next_free_vgpr 35
		.amdhsa_next_free_sgpr 16
		.amdhsa_reserve_vcc 1
		.amdhsa_reserve_flat_scratch 0
		.amdhsa_float_round_mode_32 0
		.amdhsa_float_round_mode_16_64 0
		.amdhsa_float_denorm_mode_32 3
		.amdhsa_float_denorm_mode_16_64 3
		.amdhsa_dx10_clamp 1
		.amdhsa_ieee_mode 1
		.amdhsa_fp16_overflow 0
		.amdhsa_exception_fp_ieee_invalid_op 0
		.amdhsa_exception_fp_denorm_src 0
		.amdhsa_exception_fp_ieee_div_zero 0
		.amdhsa_exception_fp_ieee_overflow 0
		.amdhsa_exception_fp_ieee_underflow 0
		.amdhsa_exception_fp_ieee_inexact 0
		.amdhsa_exception_int_div_zero 0
	.end_amdhsa_kernel
	.text
.Lfunc_end0:
	.size	fft_rtc_fwd_len243_factors_3_3_3_3_3_wgs_162_tpt_81_dim1_dp_ip_CI_unitstride_sbrr_dirReg, .Lfunc_end0-fft_rtc_fwd_len243_factors_3_3_3_3_3_wgs_162_tpt_81_dim1_dp_ip_CI_unitstride_sbrr_dirReg
                                        ; -- End function
	.section	.AMDGPU.csdata,"",@progbits
; Kernel info:
; codeLenInByte = 1684
; NumSgprs: 20
; NumVgprs: 35
; ScratchSize: 0
; MemoryBound: 1
; FloatMode: 240
; IeeeMode: 1
; LDSByteSize: 0 bytes/workgroup (compile time only)
; SGPRBlocks: 2
; VGPRBlocks: 8
; NumSGPRsForWavesPerEU: 20
; NumVGPRsForWavesPerEU: 35
; Occupancy: 7
; WaveLimiterHint : 1
; COMPUTE_PGM_RSRC2:SCRATCH_EN: 0
; COMPUTE_PGM_RSRC2:USER_SGPR: 6
; COMPUTE_PGM_RSRC2:TRAP_HANDLER: 0
; COMPUTE_PGM_RSRC2:TGID_X_EN: 1
; COMPUTE_PGM_RSRC2:TGID_Y_EN: 0
; COMPUTE_PGM_RSRC2:TGID_Z_EN: 0
; COMPUTE_PGM_RSRC2:TIDIG_COMP_CNT: 0
	.type	__hip_cuid_3f3b26eebfcb0b2e,@object ; @__hip_cuid_3f3b26eebfcb0b2e
	.section	.bss,"aw",@nobits
	.globl	__hip_cuid_3f3b26eebfcb0b2e
__hip_cuid_3f3b26eebfcb0b2e:
	.byte	0                               ; 0x0
	.size	__hip_cuid_3f3b26eebfcb0b2e, 1

	.ident	"AMD clang version 19.0.0git (https://github.com/RadeonOpenCompute/llvm-project roc-6.4.0 25133 c7fe45cf4b819c5991fe208aaa96edf142730f1d)"
	.section	".note.GNU-stack","",@progbits
	.addrsig
	.addrsig_sym __hip_cuid_3f3b26eebfcb0b2e
	.amdgpu_metadata
---
amdhsa.kernels:
  - .args:
      - .actual_access:  read_only
        .address_space:  global
        .offset:         0
        .size:           8
        .value_kind:     global_buffer
      - .actual_access:  read_only
        .address_space:  global
        .offset:         8
        .size:           8
        .value_kind:     global_buffer
      - .actual_access:  read_only
        .address_space:  global
        .offset:         16
        .size:           8
        .value_kind:     global_buffer
      - .offset:         24
        .size:           8
        .value_kind:     by_value
      - .actual_access:  read_only
        .address_space:  global
        .offset:         32
        .size:           8
        .value_kind:     global_buffer
      - .actual_access:  read_only
        .address_space:  global
        .offset:         40
        .size:           8
        .value_kind:     global_buffer
      - .offset:         48
        .size:           4
        .value_kind:     by_value
      - .actual_access:  read_only
        .address_space:  global
        .offset:         56
        .size:           8
        .value_kind:     global_buffer
      - .actual_access:  read_only
        .address_space:  global
        .offset:         64
        .size:           8
        .value_kind:     global_buffer
      - .address_space:  global
        .offset:         72
        .size:           8
        .value_kind:     global_buffer
    .group_segment_fixed_size: 0
    .kernarg_segment_align: 8
    .kernarg_segment_size: 80
    .language:       OpenCL C
    .language_version:
      - 2
      - 0
    .max_flat_workgroup_size: 162
    .name:           fft_rtc_fwd_len243_factors_3_3_3_3_3_wgs_162_tpt_81_dim1_dp_ip_CI_unitstride_sbrr_dirReg
    .private_segment_fixed_size: 0
    .sgpr_count:     20
    .sgpr_spill_count: 0
    .symbol:         fft_rtc_fwd_len243_factors_3_3_3_3_3_wgs_162_tpt_81_dim1_dp_ip_CI_unitstride_sbrr_dirReg.kd
    .uniform_work_group_size: 1
    .uses_dynamic_stack: false
    .vgpr_count:     35
    .vgpr_spill_count: 0
    .wavefront_size: 64
amdhsa.target:   amdgcn-amd-amdhsa--gfx906
amdhsa.version:
  - 1
  - 2
...

	.end_amdgpu_metadata
